;; amdgpu-corpus repo=ROCm/rocFFT kind=compiled arch=gfx906 opt=O3
	.text
	.amdgcn_target "amdgcn-amd-amdhsa--gfx906"
	.amdhsa_code_object_version 6
	.protected	fft_rtc_back_len210_factors_10_7_3_wgs_60_tpt_30_dp_op_CI_CI_unitstride_sbrr_C2R_dirReg ; -- Begin function fft_rtc_back_len210_factors_10_7_3_wgs_60_tpt_30_dp_op_CI_CI_unitstride_sbrr_C2R_dirReg
	.globl	fft_rtc_back_len210_factors_10_7_3_wgs_60_tpt_30_dp_op_CI_CI_unitstride_sbrr_C2R_dirReg
	.p2align	8
	.type	fft_rtc_back_len210_factors_10_7_3_wgs_60_tpt_30_dp_op_CI_CI_unitstride_sbrr_C2R_dirReg,@function
fft_rtc_back_len210_factors_10_7_3_wgs_60_tpt_30_dp_op_CI_CI_unitstride_sbrr_C2R_dirReg: ; @fft_rtc_back_len210_factors_10_7_3_wgs_60_tpt_30_dp_op_CI_CI_unitstride_sbrr_C2R_dirReg
; %bb.0:
	s_load_dwordx4 s[8:11], s[4:5], 0x58
	s_load_dwordx4 s[12:15], s[4:5], 0x0
	;; [unrolled: 1-line block ×3, first 2 shown]
	v_mul_u32_u24_e32 v1, 0x889, v0
	v_lshrrev_b32_e32 v7, 16, v1
	v_mov_b32_e32 v3, 0
	s_waitcnt lgkmcnt(0)
	v_cmp_lt_u64_e64 s[0:1], s[14:15], 2
	v_mov_b32_e32 v1, 0
	v_lshl_add_u32 v5, s6, 1, v7
	v_mov_b32_e32 v6, v3
	s_and_b64 vcc, exec, s[0:1]
	v_mov_b32_e32 v2, 0
	s_cbranch_vccnz .LBB0_8
; %bb.1:
	s_load_dwordx2 s[0:1], s[4:5], 0x10
	s_add_u32 s2, s18, 8
	s_addc_u32 s3, s19, 0
	s_add_u32 s6, s16, 8
	v_mov_b32_e32 v1, 0
	s_addc_u32 s7, s17, 0
	v_mov_b32_e32 v2, 0
	s_waitcnt lgkmcnt(0)
	s_add_u32 s20, s0, 8
	v_mov_b32_e32 v49, v2
	s_addc_u32 s21, s1, 0
	s_mov_b64 s[22:23], 1
	v_mov_b32_e32 v48, v1
.LBB0_2:                                ; =>This Inner Loop Header: Depth=1
	s_load_dwordx2 s[24:25], s[20:21], 0x0
                                        ; implicit-def: $vgpr50_vgpr51
	s_waitcnt lgkmcnt(0)
	v_or_b32_e32 v4, s25, v6
	v_cmp_ne_u64_e32 vcc, 0, v[3:4]
	s_and_saveexec_b64 s[0:1], vcc
	s_xor_b64 s[26:27], exec, s[0:1]
	s_cbranch_execz .LBB0_4
; %bb.3:                                ;   in Loop: Header=BB0_2 Depth=1
	v_cvt_f32_u32_e32 v4, s24
	v_cvt_f32_u32_e32 v8, s25
	s_sub_u32 s0, 0, s24
	s_subb_u32 s1, 0, s25
	v_mac_f32_e32 v4, 0x4f800000, v8
	v_rcp_f32_e32 v4, v4
	v_mul_f32_e32 v4, 0x5f7ffffc, v4
	v_mul_f32_e32 v8, 0x2f800000, v4
	v_trunc_f32_e32 v8, v8
	v_mac_f32_e32 v4, 0xcf800000, v8
	v_cvt_u32_f32_e32 v8, v8
	v_cvt_u32_f32_e32 v4, v4
	v_mul_lo_u32 v9, s0, v8
	v_mul_hi_u32 v10, s0, v4
	v_mul_lo_u32 v12, s1, v4
	v_mul_lo_u32 v11, s0, v4
	v_add_u32_e32 v9, v10, v9
	v_add_u32_e32 v9, v9, v12
	v_mul_hi_u32 v10, v4, v11
	v_mul_lo_u32 v12, v4, v9
	v_mul_hi_u32 v14, v4, v9
	v_mul_hi_u32 v13, v8, v11
	v_mul_lo_u32 v11, v8, v11
	v_mul_hi_u32 v15, v8, v9
	v_add_co_u32_e32 v10, vcc, v10, v12
	v_addc_co_u32_e32 v12, vcc, 0, v14, vcc
	v_mul_lo_u32 v9, v8, v9
	v_add_co_u32_e32 v10, vcc, v10, v11
	v_addc_co_u32_e32 v10, vcc, v12, v13, vcc
	v_addc_co_u32_e32 v11, vcc, 0, v15, vcc
	v_add_co_u32_e32 v9, vcc, v10, v9
	v_addc_co_u32_e32 v10, vcc, 0, v11, vcc
	v_add_co_u32_e32 v4, vcc, v4, v9
	v_addc_co_u32_e32 v8, vcc, v8, v10, vcc
	v_mul_lo_u32 v9, s0, v8
	v_mul_hi_u32 v10, s0, v4
	v_mul_lo_u32 v11, s1, v4
	v_mul_lo_u32 v12, s0, v4
	v_add_u32_e32 v9, v10, v9
	v_add_u32_e32 v9, v9, v11
	v_mul_lo_u32 v13, v4, v9
	v_mul_hi_u32 v14, v4, v12
	v_mul_hi_u32 v15, v4, v9
	;; [unrolled: 1-line block ×3, first 2 shown]
	v_mul_lo_u32 v12, v8, v12
	v_mul_hi_u32 v10, v8, v9
	v_add_co_u32_e32 v13, vcc, v14, v13
	v_addc_co_u32_e32 v14, vcc, 0, v15, vcc
	v_mul_lo_u32 v9, v8, v9
	v_add_co_u32_e32 v12, vcc, v13, v12
	v_addc_co_u32_e32 v11, vcc, v14, v11, vcc
	v_addc_co_u32_e32 v10, vcc, 0, v10, vcc
	v_add_co_u32_e32 v9, vcc, v11, v9
	v_addc_co_u32_e32 v10, vcc, 0, v10, vcc
	v_add_co_u32_e32 v4, vcc, v4, v9
	v_addc_co_u32_e32 v10, vcc, v8, v10, vcc
	v_mad_u64_u32 v[8:9], s[0:1], v5, v10, 0
	v_mul_hi_u32 v11, v5, v4
	v_add_co_u32_e32 v12, vcc, v11, v8
	v_addc_co_u32_e32 v13, vcc, 0, v9, vcc
	v_mad_u64_u32 v[8:9], s[0:1], v6, v4, 0
	v_mad_u64_u32 v[10:11], s[0:1], v6, v10, 0
	v_add_co_u32_e32 v4, vcc, v12, v8
	v_addc_co_u32_e32 v4, vcc, v13, v9, vcc
	v_addc_co_u32_e32 v8, vcc, 0, v11, vcc
	v_add_co_u32_e32 v4, vcc, v4, v10
	v_addc_co_u32_e32 v10, vcc, 0, v8, vcc
	v_mul_lo_u32 v11, s25, v4
	v_mul_lo_u32 v12, s24, v10
	v_mad_u64_u32 v[8:9], s[0:1], s24, v4, 0
	v_add3_u32 v9, v9, v12, v11
	v_sub_u32_e32 v11, v6, v9
	v_mov_b32_e32 v12, s25
	v_sub_co_u32_e32 v8, vcc, v5, v8
	v_subb_co_u32_e64 v11, s[0:1], v11, v12, vcc
	v_subrev_co_u32_e64 v12, s[0:1], s24, v8
	v_subbrev_co_u32_e64 v11, s[0:1], 0, v11, s[0:1]
	v_cmp_le_u32_e64 s[0:1], s25, v11
	v_cndmask_b32_e64 v13, 0, -1, s[0:1]
	v_cmp_le_u32_e64 s[0:1], s24, v12
	v_cndmask_b32_e64 v12, 0, -1, s[0:1]
	v_cmp_eq_u32_e64 s[0:1], s25, v11
	v_cndmask_b32_e64 v11, v13, v12, s[0:1]
	v_add_co_u32_e64 v12, s[0:1], 2, v4
	v_addc_co_u32_e64 v13, s[0:1], 0, v10, s[0:1]
	v_add_co_u32_e64 v14, s[0:1], 1, v4
	v_addc_co_u32_e64 v15, s[0:1], 0, v10, s[0:1]
	v_subb_co_u32_e32 v9, vcc, v6, v9, vcc
	v_cmp_ne_u32_e64 s[0:1], 0, v11
	v_cmp_le_u32_e32 vcc, s25, v9
	v_cndmask_b32_e64 v11, v15, v13, s[0:1]
	v_cndmask_b32_e64 v13, 0, -1, vcc
	v_cmp_le_u32_e32 vcc, s24, v8
	v_cndmask_b32_e64 v8, 0, -1, vcc
	v_cmp_eq_u32_e32 vcc, s25, v9
	v_cndmask_b32_e32 v8, v13, v8, vcc
	v_cmp_ne_u32_e32 vcc, 0, v8
	v_cndmask_b32_e64 v8, v14, v12, s[0:1]
	v_cndmask_b32_e32 v51, v10, v11, vcc
	v_cndmask_b32_e32 v50, v4, v8, vcc
.LBB0_4:                                ;   in Loop: Header=BB0_2 Depth=1
	s_andn2_saveexec_b64 s[0:1], s[26:27]
	s_cbranch_execz .LBB0_6
; %bb.5:                                ;   in Loop: Header=BB0_2 Depth=1
	v_cvt_f32_u32_e32 v4, s24
	s_sub_i32 s26, 0, s24
	v_mov_b32_e32 v51, v3
	v_rcp_iflag_f32_e32 v4, v4
	v_mul_f32_e32 v4, 0x4f7ffffe, v4
	v_cvt_u32_f32_e32 v4, v4
	v_mul_lo_u32 v8, s26, v4
	v_mul_hi_u32 v8, v4, v8
	v_add_u32_e32 v4, v4, v8
	v_mul_hi_u32 v4, v5, v4
	v_mul_lo_u32 v8, v4, s24
	v_add_u32_e32 v9, 1, v4
	v_sub_u32_e32 v8, v5, v8
	v_subrev_u32_e32 v10, s24, v8
	v_cmp_le_u32_e32 vcc, s24, v8
	v_cndmask_b32_e32 v8, v8, v10, vcc
	v_cndmask_b32_e32 v4, v4, v9, vcc
	v_add_u32_e32 v9, 1, v4
	v_cmp_le_u32_e32 vcc, s24, v8
	v_cndmask_b32_e32 v50, v4, v9, vcc
.LBB0_6:                                ;   in Loop: Header=BB0_2 Depth=1
	s_or_b64 exec, exec, s[0:1]
	v_mul_lo_u32 v4, v51, s24
	v_mul_lo_u32 v10, v50, s25
	v_mad_u64_u32 v[8:9], s[0:1], v50, s24, 0
	s_load_dwordx2 s[0:1], s[6:7], 0x0
	s_load_dwordx2 s[24:25], s[2:3], 0x0
	v_add3_u32 v4, v9, v10, v4
	v_sub_co_u32_e32 v5, vcc, v5, v8
	v_subb_co_u32_e32 v4, vcc, v6, v4, vcc
	s_waitcnt lgkmcnt(0)
	v_mul_lo_u32 v6, s0, v4
	v_mul_lo_u32 v8, s1, v5
	v_mad_u64_u32 v[1:2], s[0:1], s0, v5, v[1:2]
	v_mul_lo_u32 v4, s24, v4
	v_mul_lo_u32 v9, s25, v5
	v_mad_u64_u32 v[48:49], s[0:1], s24, v5, v[48:49]
	s_add_u32 s22, s22, 1
	s_addc_u32 s23, s23, 0
	s_add_u32 s2, s2, 8
	v_add3_u32 v49, v9, v49, v4
	s_addc_u32 s3, s3, 0
	v_mov_b32_e32 v4, s14
	s_add_u32 s6, s6, 8
	v_mov_b32_e32 v5, s15
	s_addc_u32 s7, s7, 0
	v_cmp_ge_u64_e32 vcc, s[22:23], v[4:5]
	s_add_u32 s20, s20, 8
	v_add3_u32 v2, v8, v2, v6
	s_addc_u32 s21, s21, 0
	s_cbranch_vccnz .LBB0_9
; %bb.7:                                ;   in Loop: Header=BB0_2 Depth=1
	v_mov_b32_e32 v5, v50
	v_mov_b32_e32 v6, v51
	s_branch .LBB0_2
.LBB0_8:
	v_mov_b32_e32 v49, v2
	v_mov_b32_e32 v51, v6
	;; [unrolled: 1-line block ×4, first 2 shown]
.LBB0_9:
	s_load_dwordx2 s[2:3], s[4:5], 0x28
	s_lshl_b64 s[6:7], s[14:15], 3
	s_add_u32 s4, s18, s6
	v_and_b32_e32 v3, 1, v7
	s_addc_u32 s5, s19, s7
	s_waitcnt lgkmcnt(0)
	v_cmp_gt_u64_e32 vcc, s[2:3], v[50:51]
	v_cmp_le_u64_e64 s[2:3], s[2:3], v[50:51]
	v_cmp_eq_u32_e64 s[0:1], 1, v3
	v_mov_b32_e32 v3, 0xd3
                                        ; implicit-def: $vgpr52
	s_and_saveexec_b64 s[14:15], s[2:3]
	s_xor_b64 s[2:3], exec, s[14:15]
; %bb.10:
	s_mov_b32 s14, 0x8888889
	v_mul_hi_u32 v1, v0, s14
	v_mul_u32_u24_e32 v1, 30, v1
	v_sub_u32_e32 v52, v0, v1
                                        ; implicit-def: $vgpr0
                                        ; implicit-def: $vgpr1_vgpr2
; %bb.11:
	s_or_saveexec_b64 s[2:3], s[2:3]
	s_load_dwordx2 s[4:5], s[4:5], 0x0
	v_cndmask_b32_e64 v10, 0, v3, s[0:1]
	v_lshlrev_b32_e32 v87, 4, v10
	s_xor_b64 exec, exec, s[2:3]
	s_cbranch_execz .LBB0_15
; %bb.12:
	s_add_u32 s0, s16, s6
	s_addc_u32 s1, s17, s7
	s_load_dwordx2 s[0:1], s[0:1], 0x0
	s_mov_b32 s6, 0x8888889
	v_mul_hi_u32 v5, v0, s6
	s_waitcnt lgkmcnt(0)
	v_mul_lo_u32 v6, s1, v50
	v_mul_lo_u32 v7, s0, v51
	v_mad_u64_u32 v[3:4], s[0:1], s0, v50, 0
	v_mul_u32_u24_e32 v5, 30, v5
	v_sub_u32_e32 v52, v0, v5
	v_add3_u32 v4, v4, v7, v6
	v_lshlrev_b64 v[3:4], 4, v[3:4]
	v_mov_b32_e32 v0, s9
	v_add_co_u32_e64 v3, s[0:1], s8, v3
	v_addc_co_u32_e64 v4, s[0:1], v0, v4, s[0:1]
	v_lshlrev_b64 v[0:1], 4, v[1:2]
	v_lshlrev_b32_e32 v2, 4, v52
	v_add_co_u32_e64 v0, s[0:1], v3, v0
	v_addc_co_u32_e64 v1, s[0:1], v4, v1, s[0:1]
	v_add_co_u32_e64 v7, s[0:1], v0, v2
	v_addc_co_u32_e64 v8, s[0:1], 0, v1, s[0:1]
	global_load_dwordx4 v[3:6], v[7:8], off
	global_load_dwordx4 v[11:14], v[7:8], off offset:480
	global_load_dwordx4 v[15:18], v[7:8], off offset:960
	;; [unrolled: 1-line block ×6, first 2 shown]
	v_add3_u32 v2, 0, v87, v2
	v_cmp_eq_u32_e64 s[0:1], 29, v52
	s_waitcnt vmcnt(6)
	ds_write_b128 v2, v[3:6]
	s_waitcnt vmcnt(5)
	ds_write_b128 v2, v[11:14] offset:480
	s_waitcnt vmcnt(4)
	ds_write_b128 v2, v[15:18] offset:960
	;; [unrolled: 2-line block ×6, first 2 shown]
	s_and_saveexec_b64 s[6:7], s[0:1]
	s_cbranch_execz .LBB0_14
; %bb.13:
	global_load_dwordx4 v[3:6], v[0:1], off offset:3360
	v_mov_b32_e32 v52, 29
	s_waitcnt vmcnt(0)
	ds_write_b128 v2, v[3:6] offset:2896
.LBB0_14:
	s_or_b64 exec, exec, s[6:7]
.LBB0_15:
	s_or_b64 exec, exec, s[2:3]
	v_lshl_add_u32 v85, v10, 4, 0
	v_lshlrev_b32_e32 v0, 4, v52
	v_add_u32_e32 v88, v85, v0
	s_waitcnt lgkmcnt(0)
	; wave barrier
	s_waitcnt lgkmcnt(0)
	v_sub_u32_e32 v11, v85, v0
	ds_read_b64 v[6:7], v88
	ds_read_b64 v[8:9], v11 offset:3360
	v_cmp_ne_u32_e64 s[0:1], 0, v52
                                        ; implicit-def: $vgpr4_vgpr5
	s_waitcnt lgkmcnt(0)
	v_add_f64 v[0:1], v[6:7], v[8:9]
	v_add_f64 v[2:3], v[6:7], -v[8:9]
	s_and_saveexec_b64 s[2:3], s[0:1]
	s_xor_b64 s[2:3], exec, s[2:3]
	s_cbranch_execz .LBB0_17
; %bb.16:
	v_mov_b32_e32 v53, 0
	v_lshlrev_b64 v[0:1], 4, v[52:53]
	v_mov_b32_e32 v2, s13
	v_add_co_u32_e64 v0, s[0:1], s12, v0
	v_addc_co_u32_e64 v1, s[0:1], v2, v1, s[0:1]
	global_load_dwordx4 v[2:5], v[0:1], off offset:3200
	ds_read_b64 v[0:1], v11 offset:3368
	ds_read_b64 v[12:13], v88 offset:8
	v_add_f64 v[14:15], v[6:7], v[8:9]
	v_add_f64 v[8:9], v[6:7], -v[8:9]
	s_waitcnt lgkmcnt(0)
	v_add_f64 v[16:17], v[0:1], v[12:13]
	v_add_f64 v[0:1], v[12:13], -v[0:1]
	s_waitcnt vmcnt(0)
	v_fma_f64 v[6:7], -v[8:9], v[4:5], v[14:15]
	v_fma_f64 v[12:13], v[16:17], v[4:5], -v[0:1]
	v_fma_f64 v[14:15], v[8:9], v[4:5], v[14:15]
	v_fma_f64 v[18:19], v[16:17], v[4:5], v[0:1]
	;; [unrolled: 1-line block ×4, first 2 shown]
	v_fma_f64 v[0:1], -v[16:17], v[2:3], v[14:15]
	v_fma_f64 v[2:3], v[8:9], v[2:3], v[18:19]
	ds_write_b128 v11, v[4:7] offset:3360
	v_mov_b32_e32 v4, v52
	v_mov_b32_e32 v5, v53
.LBB0_17:
	s_andn2_saveexec_b64 s[0:1], s[2:3]
	s_cbranch_execz .LBB0_19
; %bb.18:
	ds_read_b128 v[4:7], v85 offset:1680
	s_waitcnt lgkmcnt(0)
	v_add_f64 v[12:13], v[4:5], v[4:5]
	v_mul_f64 v[14:15], v[6:7], -2.0
	v_mov_b32_e32 v4, 0
	v_mov_b32_e32 v5, 0
	ds_write_b128 v85, v[12:15] offset:1680
.LBB0_19:
	s_or_b64 exec, exec, s[0:1]
	s_add_u32 s0, s12, 0xc80
	v_lshlrev_b64 v[4:5], 4, v[4:5]
	s_addc_u32 s1, s13, 0
	v_mov_b32_e32 v6, s1
	v_add_co_u32_e64 v4, s[0:1], s0, v4
	v_addc_co_u32_e64 v5, s[0:1], v6, v5, s[0:1]
	global_load_dwordx4 v[6:9], v[4:5], off offset:480
	global_load_dwordx4 v[12:15], v[4:5], off offset:960
	ds_write_b128 v88, v[0:3]
	ds_read_b128 v[0:3], v88 offset:480
	ds_read_b128 v[16:19], v11 offset:2880
	v_cmp_gt_u32_e64 s[0:1], 15, v52
	s_waitcnt lgkmcnt(0)
	v_add_f64 v[20:21], v[0:1], v[16:17]
	v_add_f64 v[22:23], v[18:19], v[2:3]
	v_add_f64 v[24:25], v[0:1], -v[16:17]
	v_add_f64 v[0:1], v[2:3], -v[18:19]
	s_waitcnt vmcnt(1)
	v_fma_f64 v[2:3], v[24:25], v[8:9], v[20:21]
	v_fma_f64 v[16:17], v[22:23], v[8:9], v[0:1]
	v_fma_f64 v[18:19], -v[24:25], v[8:9], v[20:21]
	v_fma_f64 v[8:9], v[22:23], v[8:9], -v[0:1]
	v_fma_f64 v[0:1], -v[22:23], v[6:7], v[2:3]
	v_fma_f64 v[2:3], v[24:25], v[6:7], v[16:17]
	v_fma_f64 v[16:17], v[22:23], v[6:7], v[18:19]
	;; [unrolled: 1-line block ×3, first 2 shown]
	ds_write_b128 v88, v[0:3] offset:480
	ds_write_b128 v11, v[16:19] offset:2880
	ds_read_b128 v[0:3], v88 offset:960
	ds_read_b128 v[6:9], v11 offset:2400
	s_waitcnt lgkmcnt(0)
	v_add_f64 v[16:17], v[0:1], v[6:7]
	v_add_f64 v[18:19], v[8:9], v[2:3]
	v_add_f64 v[20:21], v[0:1], -v[6:7]
	v_add_f64 v[0:1], v[2:3], -v[8:9]
	s_waitcnt vmcnt(0)
	v_fma_f64 v[2:3], v[20:21], v[14:15], v[16:17]
	v_fma_f64 v[6:7], v[18:19], v[14:15], v[0:1]
	v_fma_f64 v[8:9], -v[20:21], v[14:15], v[16:17]
	v_fma_f64 v[14:15], v[18:19], v[14:15], -v[0:1]
	v_fma_f64 v[0:1], -v[18:19], v[12:13], v[2:3]
	v_fma_f64 v[2:3], v[20:21], v[12:13], v[6:7]
	v_fma_f64 v[6:7], v[18:19], v[12:13], v[8:9]
	;; [unrolled: 1-line block ×3, first 2 shown]
	ds_write_b128 v88, v[0:3] offset:960
	ds_write_b128 v11, v[6:9] offset:2400
	s_and_saveexec_b64 s[2:3], s[0:1]
	s_cbranch_execz .LBB0_21
; %bb.20:
	global_load_dwordx4 v[0:3], v[4:5], off offset:1440
	ds_read_b128 v[4:7], v88 offset:1440
	ds_read_b128 v[12:15], v11 offset:1920
	s_waitcnt lgkmcnt(0)
	v_add_f64 v[8:9], v[4:5], v[12:13]
	v_add_f64 v[16:17], v[14:15], v[6:7]
	v_add_f64 v[12:13], v[4:5], -v[12:13]
	v_add_f64 v[4:5], v[6:7], -v[14:15]
	s_waitcnt vmcnt(0)
	v_fma_f64 v[6:7], v[12:13], v[2:3], v[8:9]
	v_fma_f64 v[14:15], v[16:17], v[2:3], v[4:5]
	v_fma_f64 v[8:9], -v[12:13], v[2:3], v[8:9]
	v_fma_f64 v[18:19], v[16:17], v[2:3], -v[4:5]
	v_fma_f64 v[2:3], -v[16:17], v[0:1], v[6:7]
	v_fma_f64 v[4:5], v[12:13], v[0:1], v[14:15]
	v_fma_f64 v[6:7], v[16:17], v[0:1], v[8:9]
	;; [unrolled: 1-line block ×3, first 2 shown]
	ds_write_b128 v88, v[2:5] offset:1440
	ds_write_b128 v11, v[6:9] offset:1920
.LBB0_21:
	s_or_b64 exec, exec, s[2:3]
	v_lshl_add_u32 v89, v52, 4, 0
	v_lshl_add_u32 v86, v10, 4, v89
	s_waitcnt lgkmcnt(0)
	; wave barrier
	s_waitcnt lgkmcnt(0)
	s_waitcnt lgkmcnt(0)
	; wave barrier
	s_waitcnt lgkmcnt(0)
	ds_read_b128 v[8:11], v86 offset:2688
	ds_read_b128 v[12:15], v86 offset:672
	;; [unrolled: 1-line block ×6, first 2 shown]
	ds_read_b128 v[40:43], v88
	ds_read_b128 v[36:39], v86 offset:1680
	ds_read_b128 v[24:27], v86 offset:2352
	s_mov_b32 s8, 0x134454ff
	s_waitcnt lgkmcnt(7)
	v_add_f64 v[0:1], v[12:13], v[8:9]
	s_waitcnt lgkmcnt(3)
	v_add_f64 v[53:54], v[34:35], -v[22:23]
	s_mov_b32 s9, 0x3fee6f0e
	v_add_f64 v[2:3], v[32:33], -v[12:13]
	v_add_f64 v[4:5], v[20:21], -v[8:9]
	;; [unrolled: 1-line block ×3, first 2 shown]
	s_mov_b32 s2, 0x4755a5e
	s_mov_b32 s3, 0xbfe2cf23
	s_waitcnt lgkmcnt(2)
	v_fma_f64 v[0:1], v[0:1], -0.5, v[40:41]
	ds_read_b128 v[44:47], v86 offset:336
	v_add_f64 v[59:60], v[28:29], v[16:17]
	s_waitcnt lgkmcnt(1)
	v_add_f64 v[75:76], v[36:37], -v[24:25]
	v_add_f64 v[2:3], v[2:3], v[4:5]
	s_mov_b32 s7, 0xbfee6f0e
	s_mov_b32 s6, s8
	v_add_f64 v[57:58], v[14:15], v[10:11]
	v_fma_f64 v[6:7], v[53:54], s[8:9], v[0:1]
	v_add_f64 v[77:78], v[38:39], -v[26:27]
	s_waitcnt lgkmcnt(0)
	v_fma_f64 v[59:60], v[59:60], -0.5, v[44:45]
	v_add_f64 v[65:66], v[38:39], -v[30:31]
	v_add_f64 v[67:68], v[26:27], -v[18:19]
	;; [unrolled: 1-line block ×3, first 2 shown]
	s_mov_b32 s19, 0x3fe2cf23
	s_mov_b32 s18, s2
	v_fma_f64 v[4:5], v[55:56], s[2:3], v[6:7]
	v_add_f64 v[6:7], v[30:31], v[18:19]
	v_fma_f64 v[57:58], v[57:58], -0.5, v[42:43]
	v_add_f64 v[73:74], v[32:33], -v[20:21]
	v_add_f64 v[71:72], v[36:37], -v[28:29]
	;; [unrolled: 1-line block ×3, first 2 shown]
	v_fma_f64 v[92:93], v[77:78], s[8:9], v[59:60]
	v_add_f64 v[83:84], v[30:31], -v[18:19]
	v_fma_f64 v[59:60], v[77:78], s[6:7], v[59:60]
	v_fma_f64 v[6:7], v[6:7], -0.5, v[46:47]
	v_add_f64 v[65:66], v[65:66], v[67:68]
	s_mov_b32 s16, 0x372fe950
	s_mov_b32 s17, 0x3fd3c6ef
	v_fma_f64 v[0:1], v[53:54], s[6:7], v[0:1]
	v_add_f64 v[61:62], v[34:35], -v[14:15]
	v_add_f64 v[63:64], v[22:23], -v[10:11]
	;; [unrolled: 1-line block ×3, first 2 shown]
	v_fma_f64 v[69:70], v[75:76], s[6:7], v[6:7]
	v_fma_f64 v[6:7], v[75:76], s[8:9], v[6:7]
	v_add_f64 v[71:72], v[71:72], v[90:91]
	v_fma_f64 v[90:91], v[83:84], s[2:3], v[92:93]
	v_fma_f64 v[59:60], v[83:84], s[18:19], v[59:60]
	s_mov_b32 s1, 0xbfd3c6ef
	s_mov_b32 s0, s16
	v_fma_f64 v[0:1], v[55:56], s[18:19], v[0:1]
	v_fma_f64 v[67:68], v[79:80], s[18:19], v[69:70]
	;; [unrolled: 1-line block ×5, first 2 shown]
	v_add_f64 v[61:62], v[61:62], v[63:64]
	v_fma_f64 v[90:91], v[71:72], s[16:17], v[90:91]
	v_fma_f64 v[71:72], v[71:72], s[16:17], v[59:60]
	;; [unrolled: 1-line block ×8, first 2 shown]
	s_waitcnt lgkmcnt(0)
	; wave barrier
	v_mul_f64 v[92:93], v[67:68], s[6:7]
	v_mul_f64 v[67:68], v[67:68], s[16:17]
	;; [unrolled: 1-line block ×4, first 2 shown]
	v_fma_f64 v[65:66], v[61:62], s[16:17], v[63:64]
	v_fma_f64 v[69:70], v[61:62], s[16:17], v[69:70]
	v_fma_f64 v[61:62], v[90:91], s[16:17], v[92:93]
	v_fma_f64 v[67:68], v[90:91], s[8:9], v[67:68]
	v_fma_f64 v[63:64], v[71:72], s[0:1], v[94:95]
	v_fma_f64 v[71:72], v[71:72], s[8:9], v[6:7]
	v_cmp_gt_u32_e64 s[0:1], 21, v52
	v_add_f64 v[0:1], v[57:58], -v[61:62]
	v_add_f64 v[2:3], v[65:66], -v[67:68]
	;; [unrolled: 1-line block ×4, first 2 shown]
	s_and_saveexec_b64 s[14:15], s[0:1]
	s_cbranch_execz .LBB0_23
; %bb.22:
	v_add_f64 v[90:91], v[38:39], v[26:27]
	v_add_f64 v[92:93], v[36:37], v[24:25]
	;; [unrolled: 1-line block ×3, first 2 shown]
	v_add_f64 v[100:101], v[28:29], -v[36:37]
	v_add_f64 v[102:103], v[16:17], -v[24:25]
	;; [unrolled: 1-line block ×4, first 2 shown]
	v_add_f64 v[30:31], v[46:47], v[30:31]
	v_fma_f64 v[90:91], v[90:91], -0.5, v[46:47]
	v_fma_f64 v[92:93], v[92:93], -0.5, v[44:45]
	v_add_f64 v[94:95], v[14:15], -v[34:35]
	v_add_f64 v[14:15], v[42:43], v[14:15]
	v_fma_f64 v[42:43], v[98:99], -0.5, v[42:43]
	v_add_f64 v[98:99], v[100:101], v[102:103]
	v_add_f64 v[102:103], v[32:33], v[20:21]
	v_add_f64 v[110:111], v[12:13], -v[32:33]
	v_fma_f64 v[46:47], v[79:80], s[6:7], v[90:91]
	v_fma_f64 v[108:109], v[83:84], s[6:7], v[92:93]
	;; [unrolled: 1-line block ×4, first 2 shown]
	v_add_f64 v[100:101], v[104:105], v[106:107]
	v_add_f64 v[12:13], v[40:41], v[12:13]
	;; [unrolled: 1-line block ×3, first 2 shown]
	v_add_f64 v[96:97], v[10:11], -v[22:23]
	v_fma_f64 v[46:47], v[75:76], s[2:3], v[46:47]
	v_fma_f64 v[90:91], v[77:78], s[2:3], v[108:109]
	;; [unrolled: 1-line block ×4, first 2 shown]
	v_fma_f64 v[83:84], v[102:103], -0.5, v[40:41]
	v_fma_f64 v[104:105], v[81:82], s[6:7], v[42:43]
	v_fma_f64 v[42:43], v[81:82], s[8:9], v[42:43]
	v_add_f64 v[14:15], v[14:15], v[34:35]
	v_fma_f64 v[46:47], v[100:101], s[16:17], v[46:47]
	v_add_f64 v[30:31], v[30:31], v[38:39]
	v_add_f64 v[12:13], v[12:13], v[32:33]
	;; [unrolled: 1-line block ×3, first 2 shown]
	v_add_f64 v[92:93], v[8:9], -v[20:21]
	v_fma_f64 v[79:80], v[98:99], s[16:17], v[90:91]
	v_fma_f64 v[75:76], v[100:101], s[16:17], v[75:76]
	;; [unrolled: 1-line block ×4, first 2 shown]
	s_mov_b32 s0, 0x9b97f4a8
	s_mov_b32 s1, 0xbfe9e377
	v_add_f64 v[81:82], v[94:95], v[96:97]
	v_fma_f64 v[90:91], v[73:74], s[2:3], v[104:105]
	v_fma_f64 v[42:43], v[73:74], s[18:19], v[42:43]
	v_fma_f64 v[73:74], v[98:99], s[16:17], v[77:78]
	v_mul_f64 v[77:78], v[46:47], s[0:1]
	v_add_f64 v[14:15], v[14:15], v[22:23]
	v_add_f64 v[22:23], v[30:31], v[26:27]
	;; [unrolled: 1-line block ×4, first 2 shown]
	v_mul_f64 v[94:95], v[79:80], s[18:19]
	v_add_f64 v[26:27], v[110:111], v[92:93]
	v_fma_f64 v[32:33], v[53:54], s[2:3], v[40:41]
	v_mul_f64 v[36:37], v[75:76], s[2:3]
	v_fma_f64 v[30:31], v[53:54], s[18:19], v[34:35]
	v_mul_f64 v[34:35], v[46:47], s[2:3]
	s_mov_b32 s21, 0x3fe9e377
	s_mov_b32 s20, s0
	v_fma_f64 v[38:39], v[81:82], s[16:17], v[90:91]
	v_fma_f64 v[77:78], v[73:74], s[18:19], v[77:78]
	v_add_f64 v[40:41], v[14:15], v[10:11]
	v_add_f64 v[44:45], v[22:23], v[18:19]
	;; [unrolled: 1-line block ×4, first 2 shown]
	v_fma_f64 v[42:43], v[81:82], s[16:17], v[42:43]
	v_fma_f64 v[81:82], v[75:76], s[20:21], v[94:95]
	;; [unrolled: 1-line block ×6, first 2 shown]
	v_add_f64 v[10:11], v[38:39], -v[77:78]
	v_add_f64 v[22:23], v[38:39], v[77:78]
	v_add_f64 v[38:39], v[40:41], v[44:45]
	;; [unrolled: 1-line block ×5, first 2 shown]
	v_add_f64 v[12:13], v[24:25], -v[28:29]
	v_add_f64 v[30:31], v[65:66], v[67:68]
	v_add_f64 v[28:29], v[57:58], v[61:62]
	;; [unrolled: 1-line block ×5, first 2 shown]
	v_add_f64 v[18:19], v[40:41], -v[44:45]
	v_add_f64 v[16:17], v[55:56], -v[16:17]
	;; [unrolled: 1-line block ×3, first 2 shown]
	v_mul_u32_u24_e32 v40, 0x90, v52
	v_add3_u32 v40, v89, v40, v87
	v_add_f64 v[8:9], v[46:47], -v[53:54]
	ds_write_b128 v40, v[36:39]
	ds_write_b128 v40, v[32:35] offset:16
	ds_write_b128 v40, v[28:31] offset:32
	;; [unrolled: 1-line block ×9, first 2 shown]
.LBB0_23:
	s_or_b64 exec, exec, s[14:15]
	s_movk_i32 s0, 0xcd
	v_mul_lo_u16_sdwa v8, v52, s0 dst_sel:DWORD dst_unused:UNUSED_PAD src0_sel:BYTE_0 src1_sel:DWORD
	v_lshrrev_b16_e32 v65, 11, v8
	v_mul_lo_u16_e32 v8, 10, v65
	v_sub_u16_e32 v66, v52, v8
	v_mov_b32_e32 v8, 6
	v_mul_u32_u24_sdwa v8, v66, v8 dst_sel:DWORD dst_unused:UNUSED_PAD src0_sel:BYTE_0 src1_sel:DWORD
	v_lshlrev_b32_e32 v32, 4, v8
	s_waitcnt lgkmcnt(0)
	; wave barrier
	s_waitcnt lgkmcnt(0)
	global_load_dwordx4 v[8:11], v32, s[12:13]
	global_load_dwordx4 v[12:15], v32, s[12:13] offset:16
	global_load_dwordx4 v[16:19], v32, s[12:13] offset:32
	;; [unrolled: 1-line block ×5, first 2 shown]
	ds_read_b128 v[32:35], v88
	ds_read_b128 v[36:39], v86 offset:480
	ds_read_b128 v[40:43], v86 offset:960
	;; [unrolled: 1-line block ×6, first 2 shown]
	s_movk_i32 s22, 0x460
	v_mov_b32_e32 v67, 4
	v_mad_u32_u24 v77, v65, s22, 0
	v_lshlrev_b32_sdwa v78, v67, v66 dst_sel:DWORD dst_unused:UNUSED_PAD src0_sel:DWORD src1_sel:BYTE_0
	s_mov_b32 s2, 0x37e14327
	s_mov_b32 s0, 0x36b3c0b5
	;; [unrolled: 1-line block ×16, first 2 shown]
	s_waitcnt lgkmcnt(0)
	; wave barrier
	s_waitcnt vmcnt(5) lgkmcnt(0)
	v_mul_f64 v[65:66], v[38:39], v[10:11]
	v_mul_f64 v[10:11], v[36:37], v[10:11]
	s_waitcnt vmcnt(4)
	v_mul_f64 v[67:68], v[42:43], v[14:15]
	v_mul_f64 v[14:15], v[40:41], v[14:15]
	s_waitcnt vmcnt(3)
	;; [unrolled: 3-line block ×4, first 2 shown]
	v_mul_f64 v[75:76], v[59:60], v[30:31]
	v_mul_f64 v[30:31], v[57:58], v[30:31]
	;; [unrolled: 1-line block ×4, first 2 shown]
	v_fma_f64 v[36:37], v[36:37], v[8:9], v[65:66]
	v_fma_f64 v[8:9], v[38:39], v[8:9], -v[10:11]
	v_fma_f64 v[10:11], v[40:41], v[12:13], v[67:68]
	v_fma_f64 v[12:13], v[42:43], v[12:13], -v[14:15]
	;; [unrolled: 2-line block ×6, first 2 shown]
	v_add_f64 v[22:23], v[36:37], v[14:15]
	v_add_f64 v[38:39], v[8:9], v[24:25]
	v_add_f64 v[14:15], v[36:37], -v[14:15]
	v_add_f64 v[8:9], v[8:9], -v[24:25]
	v_add_f64 v[24:25], v[10:11], v[18:19]
	v_add_f64 v[36:37], v[12:13], v[28:29]
	v_add_f64 v[10:11], v[10:11], -v[18:19]
	v_add_f64 v[12:13], v[12:13], -v[28:29]
	;; [unrolled: 4-line block ×4, first 2 shown]
	v_add_f64 v[22:23], v[22:23], -v[18:19]
	v_add_f64 v[38:39], v[38:39], -v[28:29]
	;; [unrolled: 1-line block ×4, first 2 shown]
	v_add_f64 v[44:45], v[26:27], v[10:11]
	v_add_f64 v[46:47], v[16:17], v[12:13]
	v_add_f64 v[53:54], v[26:27], -v[10:11]
	v_add_f64 v[55:56], v[16:17], -v[12:13]
	v_add_f64 v[18:19], v[18:19], v[20:21]
	v_add_f64 v[20:21], v[28:29], v[30:31]
	v_add_f64 v[10:11], v[10:11], -v[14:15]
	v_add_f64 v[57:58], v[12:13], -v[8:9]
	;; [unrolled: 1-line block ×4, first 2 shown]
	v_add_f64 v[28:29], v[44:45], v[14:15]
	v_add_f64 v[8:9], v[46:47], v[8:9]
	v_mul_f64 v[22:23], v[22:23], s[2:3]
	v_mul_f64 v[30:31], v[38:39], s[2:3]
	;; [unrolled: 1-line block ×6, first 2 shown]
	v_add_f64 v[12:13], v[32:33], v[18:19]
	v_add_f64 v[14:15], v[34:35], v[20:21]
	v_mul_f64 v[55:56], v[10:11], s[6:7]
	v_mul_f64 v[59:60], v[57:58], s[6:7]
	v_fma_f64 v[24:25], v[24:25], s[0:1], v[22:23]
	v_fma_f64 v[32:33], v[36:37], s[0:1], v[30:31]
	v_fma_f64 v[34:35], v[40:41], s[16:17], -v[38:39]
	v_fma_f64 v[36:37], v[42:43], s[16:17], -v[44:45]
	s_mov_b32 s17, 0xbfe77f67
	v_fma_f64 v[38:39], v[26:27], s[18:19], v[46:47]
	v_fma_f64 v[44:45], v[16:17], s[18:19], v[53:54]
	v_fma_f64 v[10:11], v[10:11], s[6:7], -v[46:47]
	v_fma_f64 v[46:47], v[57:58], s[6:7], -v[53:54]
	s_mov_b32 s19, 0x3fd5d0dc
	v_fma_f64 v[18:19], v[18:19], s[8:9], v[12:13]
	v_fma_f64 v[20:21], v[20:21], s[8:9], v[14:15]
	v_fma_f64 v[22:23], v[40:41], s[16:17], -v[22:23]
	v_fma_f64 v[30:31], v[42:43], s[16:17], -v[30:31]
	;; [unrolled: 1-line block ×4, first 2 shown]
	v_fma_f64 v[38:39], v[28:29], s[20:21], v[38:39]
	v_fma_f64 v[40:41], v[8:9], s[20:21], v[44:45]
	;; [unrolled: 1-line block ×3, first 2 shown]
	v_add_f64 v[46:47], v[24:25], v[18:19]
	v_add_f64 v[53:54], v[32:33], v[20:21]
	;; [unrolled: 1-line block ×3, first 2 shown]
	v_fma_f64 v[44:45], v[28:29], s[20:21], v[26:27]
	v_fma_f64 v[8:9], v[8:9], s[20:21], v[16:17]
	v_add_f64 v[55:56], v[30:31], v[20:21]
	v_fma_f64 v[10:11], v[28:29], s[20:21], v[10:11]
	v_add_f64 v[28:29], v[34:35], v[18:19]
	v_add_f64 v[30:31], v[36:37], v[20:21]
	;; [unrolled: 1-line block ×3, first 2 shown]
	v_add_f64 v[18:19], v[53:54], -v[38:39]
	v_add3_u32 v36, v77, v78, v87
	v_add_f64 v[20:21], v[8:9], v[32:33]
	v_add_f64 v[22:23], v[55:56], -v[44:45]
	v_add_f64 v[32:33], v[32:33], -v[8:9]
	v_add_f64 v[24:25], v[28:29], -v[42:43]
	v_add_f64 v[26:27], v[10:11], v[30:31]
	v_add_f64 v[28:29], v[42:43], v[28:29]
	v_add_f64 v[30:31], v[30:31], -v[10:11]
	v_add_f64 v[34:35], v[44:45], v[55:56]
	v_add_f64 v[8:9], v[46:47], -v[40:41]
	v_add_f64 v[10:11], v[38:39], v[53:54]
	ds_write_b128 v36, v[12:15]
	ds_write_b128 v36, v[16:19] offset:160
	ds_write_b128 v36, v[20:23] offset:320
	;; [unrolled: 1-line block ×6, first 2 shown]
	s_waitcnt lgkmcnt(0)
	; wave barrier
	s_waitcnt lgkmcnt(0)
	ds_read_b128 v[16:19], v88
	ds_read_b128 v[12:15], v86 offset:480
	ds_read_b128 v[28:31], v86 offset:1120
	;; [unrolled: 1-line block ×5, first 2 shown]
	v_cmp_gt_u32_e64 s[0:1], 10, v52
	s_and_saveexec_b64 s[2:3], s[0:1]
	s_cbranch_execz .LBB0_25
; %bb.24:
	ds_read_b128 v[8:11], v86 offset:960
	ds_read_b128 v[0:3], v86 offset:2080
	;; [unrolled: 1-line block ×3, first 2 shown]
.LBB0_25:
	s_or_b64 exec, exec, s[2:3]
	v_lshlrev_b32_e32 v36, 1, v52
	v_mov_b32_e32 v37, 0
	v_lshlrev_b64 v[38:39], 4, v[36:37]
	v_mov_b32_e32 v53, s13
	v_add_co_u32_e64 v46, s[2:3], s12, v38
	v_addc_co_u32_e64 v47, s[2:3], v53, v39, s[2:3]
	v_add_u32_e32 v36, 60, v36
	global_load_dwordx4 v[38:41], v[46:47], off offset:976
	global_load_dwordx4 v[42:45], v[46:47], off offset:960
	v_lshlrev_b64 v[46:47], 4, v[36:37]
	s_mov_b32 s7, 0x3febb67a
	v_add_co_u32_e64 v46, s[2:3], s12, v46
	v_addc_co_u32_e64 v47, s[2:3], v53, v47, s[2:3]
	global_load_dwordx4 v[53:56], v[46:47], off offset:960
	global_load_dwordx4 v[57:60], v[46:47], off offset:976
	s_mov_b32 s2, 0xe8584caa
	s_mov_b32 s3, 0xbfebb67a
	;; [unrolled: 1-line block ×3, first 2 shown]
	s_waitcnt lgkmcnt(0)
	; wave barrier
	s_waitcnt vmcnt(3) lgkmcnt(0)
	v_mul_f64 v[61:62], v[34:35], v[40:41]
	s_waitcnt vmcnt(2)
	v_mul_f64 v[46:47], v[30:31], v[44:45]
	v_mul_f64 v[44:45], v[28:29], v[44:45]
	;; [unrolled: 1-line block ×3, first 2 shown]
	s_waitcnt vmcnt(1)
	v_mul_f64 v[63:64], v[22:23], v[55:56]
	v_mul_f64 v[55:56], v[20:21], v[55:56]
	s_waitcnt vmcnt(0)
	v_mul_f64 v[65:66], v[26:27], v[59:60]
	v_mul_f64 v[59:60], v[24:25], v[59:60]
	v_fma_f64 v[28:29], v[28:29], v[42:43], v[46:47]
	v_fma_f64 v[30:31], v[30:31], v[42:43], -v[44:45]
	v_fma_f64 v[32:33], v[32:33], v[38:39], v[61:62]
	v_fma_f64 v[34:35], v[34:35], v[38:39], -v[40:41]
	v_fma_f64 v[20:21], v[20:21], v[53:54], v[63:64]
	v_fma_f64 v[22:23], v[22:23], v[53:54], -v[55:56]
	v_fma_f64 v[24:25], v[24:25], v[57:58], v[65:66]
	v_fma_f64 v[26:27], v[26:27], v[57:58], -v[59:60]
	v_add_f64 v[38:39], v[16:17], v[28:29]
	v_add_f64 v[44:45], v[18:19], v[30:31]
	;; [unrolled: 1-line block ×3, first 2 shown]
	v_add_f64 v[42:43], v[30:31], -v[34:35]
	v_add_f64 v[30:31], v[30:31], v[34:35]
	v_add_f64 v[57:58], v[14:15], v[22:23]
	;; [unrolled: 1-line block ×3, first 2 shown]
	v_add_f64 v[55:56], v[22:23], -v[26:27]
	v_add_f64 v[22:23], v[22:23], v[26:27]
	v_add_f64 v[46:47], v[12:13], v[20:21]
	v_add_f64 v[28:29], v[28:29], -v[32:33]
	v_fma_f64 v[40:41], v[40:41], -0.5, v[16:17]
	v_fma_f64 v[30:31], v[30:31], -0.5, v[18:19]
	v_add_f64 v[59:60], v[20:21], -v[24:25]
	v_add_f64 v[16:17], v[38:39], v[32:33]
	v_add_f64 v[18:19], v[44:45], v[34:35]
	v_fma_f64 v[32:33], v[53:54], -0.5, v[12:13]
	v_fma_f64 v[34:35], v[22:23], -0.5, v[14:15]
	v_add_f64 v[12:13], v[46:47], v[24:25]
	v_add_f64 v[14:15], v[57:58], v[26:27]
	v_fma_f64 v[20:21], v[42:43], s[2:3], v[40:41]
	v_fma_f64 v[22:23], v[28:29], s[6:7], v[30:31]
	;; [unrolled: 1-line block ×8, first 2 shown]
	ds_write_b128 v86, v[16:19]
	ds_write_b128 v86, v[12:15] offset:480
	ds_write_b128 v86, v[20:23] offset:1120
	;; [unrolled: 1-line block ×5, first 2 shown]
	s_and_saveexec_b64 s[8:9], s[0:1]
	s_cbranch_execz .LBB0_27
; %bb.26:
	v_cndmask_b32_e64 v12, -10, 60, s[0:1]
	v_add_lshl_u32 v36, v52, v12, 1
	v_lshlrev_b64 v[12:13], 4, v[36:37]
	v_mov_b32_e32 v14, s13
	v_add_co_u32_e64 v20, s[0:1], s12, v12
	v_addc_co_u32_e64 v21, s[0:1], v14, v13, s[0:1]
	global_load_dwordx4 v[12:15], v[20:21], off offset:960
	global_load_dwordx4 v[16:19], v[20:21], off offset:976
	s_waitcnt vmcnt(1)
	v_mul_f64 v[20:21], v[0:1], v[14:15]
	s_waitcnt vmcnt(0)
	v_mul_f64 v[22:23], v[4:5], v[18:19]
	v_mul_f64 v[14:15], v[2:3], v[14:15]
	;; [unrolled: 1-line block ×3, first 2 shown]
	v_fma_f64 v[2:3], v[2:3], v[12:13], -v[20:21]
	v_fma_f64 v[6:7], v[6:7], v[16:17], -v[22:23]
	v_fma_f64 v[0:1], v[0:1], v[12:13], v[14:15]
	v_fma_f64 v[4:5], v[4:5], v[16:17], v[18:19]
	v_add_f64 v[18:19], v[10:11], v[2:3]
	v_add_f64 v[12:13], v[2:3], v[6:7]
	v_add_f64 v[14:15], v[0:1], v[4:5]
	v_add_f64 v[16:17], v[0:1], -v[4:5]
	v_add_f64 v[0:1], v[8:9], v[0:1]
	v_fma_f64 v[10:11], v[12:13], -0.5, v[10:11]
	v_add_f64 v[12:13], v[2:3], -v[6:7]
	v_fma_f64 v[14:15], v[14:15], -0.5, v[8:9]
	v_add_f64 v[2:3], v[18:19], v[6:7]
	v_add_f64 v[0:1], v[0:1], v[4:5]
	v_fma_f64 v[6:7], v[16:17], s[2:3], v[10:11]
	v_fma_f64 v[10:11], v[16:17], s[6:7], v[10:11]
	;; [unrolled: 1-line block ×4, first 2 shown]
	ds_write_b128 v86, v[0:3] offset:960
	ds_write_b128 v86, v[8:11] offset:2080
	;; [unrolled: 1-line block ×3, first 2 shown]
.LBB0_27:
	s_or_b64 exec, exec, s[8:9]
	s_waitcnt lgkmcnt(0)
	; wave barrier
	s_waitcnt lgkmcnt(0)
	s_and_saveexec_b64 s[0:1], vcc
	s_cbranch_execz .LBB0_29
; %bb.28:
	v_mul_lo_u32 v0, s5, v50
	v_mul_lo_u32 v1, s4, v51
	v_mad_u64_u32 v[4:5], s[0:1], s4, v50, 0
	v_mov_b32_e32 v6, s11
	v_lshl_add_u32 v10, v52, 4, v85
	v_add3_u32 v5, v5, v1, v0
	v_lshlrev_b64 v[4:5], 4, v[4:5]
	v_mov_b32_e32 v53, 0
	v_add_co_u32_e32 v7, vcc, s10, v4
	v_addc_co_u32_e32 v6, vcc, v6, v5, vcc
	v_lshlrev_b64 v[4:5], 4, v[48:49]
	ds_read_b128 v[0:3], v10
	v_add_co_u32_e32 v11, vcc, v7, v4
	v_addc_co_u32_e32 v12, vcc, v6, v5, vcc
	v_lshlrev_b64 v[4:5], 4, v[52:53]
	v_add_co_u32_e32 v8, vcc, v11, v4
	v_addc_co_u32_e32 v9, vcc, v12, v5, vcc
	ds_read_b128 v[4:7], v10 offset:480
	s_waitcnt lgkmcnt(1)
	global_store_dwordx4 v[8:9], v[0:3], off
	s_nop 0
	v_add_u32_e32 v0, 30, v52
	v_mov_b32_e32 v1, v53
	v_lshlrev_b64 v[0:1], 4, v[0:1]
	v_add_co_u32_e32 v0, vcc, v11, v0
	v_addc_co_u32_e32 v1, vcc, v12, v1, vcc
	s_waitcnt lgkmcnt(0)
	global_store_dwordx4 v[0:1], v[4:7], off
	ds_read_b128 v[0:3], v10 offset:960
	v_add_u32_e32 v4, 60, v52
	v_mov_b32_e32 v5, v53
	v_lshlrev_b64 v[4:5], 4, v[4:5]
	v_add_co_u32_e32 v8, vcc, v11, v4
	v_addc_co_u32_e32 v9, vcc, v12, v5, vcc
	ds_read_b128 v[4:7], v10 offset:1440
	s_waitcnt lgkmcnt(1)
	global_store_dwordx4 v[8:9], v[0:3], off
	s_nop 0
	v_add_u32_e32 v0, 0x5a, v52
	v_mov_b32_e32 v1, v53
	v_lshlrev_b64 v[0:1], 4, v[0:1]
	v_add_co_u32_e32 v0, vcc, v11, v0
	v_addc_co_u32_e32 v1, vcc, v12, v1, vcc
	s_waitcnt lgkmcnt(0)
	global_store_dwordx4 v[0:1], v[4:7], off
	ds_read_b128 v[0:3], v10 offset:1920
	v_add_u32_e32 v4, 0x78, v52
	v_mov_b32_e32 v5, v53
	v_lshlrev_b64 v[4:5], 4, v[4:5]
	v_add_co_u32_e32 v8, vcc, v11, v4
	v_addc_co_u32_e32 v9, vcc, v12, v5, vcc
	ds_read_b128 v[4:7], v10 offset:2400
	s_waitcnt lgkmcnt(1)
	global_store_dwordx4 v[8:9], v[0:3], off
	s_nop 0
	v_add_u32_e32 v0, 0x96, v52
	v_mov_b32_e32 v1, v53
	v_lshlrev_b64 v[0:1], 4, v[0:1]
	v_add_u32_e32 v52, 0xb4, v52
	v_add_co_u32_e32 v0, vcc, v11, v0
	v_addc_co_u32_e32 v1, vcc, v12, v1, vcc
	s_waitcnt lgkmcnt(0)
	global_store_dwordx4 v[0:1], v[4:7], off
	ds_read_b128 v[0:3], v10 offset:2880
	v_lshlrev_b64 v[4:5], 4, v[52:53]
	v_add_co_u32_e32 v4, vcc, v11, v4
	v_addc_co_u32_e32 v5, vcc, v12, v5, vcc
	s_waitcnt lgkmcnt(0)
	global_store_dwordx4 v[4:5], v[0:3], off
.LBB0_29:
	s_endpgm
	.section	.rodata,"a",@progbits
	.p2align	6, 0x0
	.amdhsa_kernel fft_rtc_back_len210_factors_10_7_3_wgs_60_tpt_30_dp_op_CI_CI_unitstride_sbrr_C2R_dirReg
		.amdhsa_group_segment_fixed_size 0
		.amdhsa_private_segment_fixed_size 0
		.amdhsa_kernarg_size 104
		.amdhsa_user_sgpr_count 6
		.amdhsa_user_sgpr_private_segment_buffer 1
		.amdhsa_user_sgpr_dispatch_ptr 0
		.amdhsa_user_sgpr_queue_ptr 0
		.amdhsa_user_sgpr_kernarg_segment_ptr 1
		.amdhsa_user_sgpr_dispatch_id 0
		.amdhsa_user_sgpr_flat_scratch_init 0
		.amdhsa_user_sgpr_private_segment_size 0
		.amdhsa_uses_dynamic_stack 0
		.amdhsa_system_sgpr_private_segment_wavefront_offset 0
		.amdhsa_system_sgpr_workgroup_id_x 1
		.amdhsa_system_sgpr_workgroup_id_y 0
		.amdhsa_system_sgpr_workgroup_id_z 0
		.amdhsa_system_sgpr_workgroup_info 0
		.amdhsa_system_vgpr_workitem_id 0
		.amdhsa_next_free_vgpr 112
		.amdhsa_next_free_sgpr 28
		.amdhsa_reserve_vcc 1
		.amdhsa_reserve_flat_scratch 0
		.amdhsa_float_round_mode_32 0
		.amdhsa_float_round_mode_16_64 0
		.amdhsa_float_denorm_mode_32 3
		.amdhsa_float_denorm_mode_16_64 3
		.amdhsa_dx10_clamp 1
		.amdhsa_ieee_mode 1
		.amdhsa_fp16_overflow 0
		.amdhsa_exception_fp_ieee_invalid_op 0
		.amdhsa_exception_fp_denorm_src 0
		.amdhsa_exception_fp_ieee_div_zero 0
		.amdhsa_exception_fp_ieee_overflow 0
		.amdhsa_exception_fp_ieee_underflow 0
		.amdhsa_exception_fp_ieee_inexact 0
		.amdhsa_exception_int_div_zero 0
	.end_amdhsa_kernel
	.text
.Lfunc_end0:
	.size	fft_rtc_back_len210_factors_10_7_3_wgs_60_tpt_30_dp_op_CI_CI_unitstride_sbrr_C2R_dirReg, .Lfunc_end0-fft_rtc_back_len210_factors_10_7_3_wgs_60_tpt_30_dp_op_CI_CI_unitstride_sbrr_C2R_dirReg
                                        ; -- End function
	.section	.AMDGPU.csdata,"",@progbits
; Kernel info:
; codeLenInByte = 6504
; NumSgprs: 32
; NumVgprs: 112
; ScratchSize: 0
; MemoryBound: 0
; FloatMode: 240
; IeeeMode: 1
; LDSByteSize: 0 bytes/workgroup (compile time only)
; SGPRBlocks: 3
; VGPRBlocks: 27
; NumSGPRsForWavesPerEU: 32
; NumVGPRsForWavesPerEU: 112
; Occupancy: 2
; WaveLimiterHint : 1
; COMPUTE_PGM_RSRC2:SCRATCH_EN: 0
; COMPUTE_PGM_RSRC2:USER_SGPR: 6
; COMPUTE_PGM_RSRC2:TRAP_HANDLER: 0
; COMPUTE_PGM_RSRC2:TGID_X_EN: 1
; COMPUTE_PGM_RSRC2:TGID_Y_EN: 0
; COMPUTE_PGM_RSRC2:TGID_Z_EN: 0
; COMPUTE_PGM_RSRC2:TIDIG_COMP_CNT: 0
	.type	__hip_cuid_3633394be0a62a97,@object ; @__hip_cuid_3633394be0a62a97
	.section	.bss,"aw",@nobits
	.globl	__hip_cuid_3633394be0a62a97
__hip_cuid_3633394be0a62a97:
	.byte	0                               ; 0x0
	.size	__hip_cuid_3633394be0a62a97, 1

	.ident	"AMD clang version 19.0.0git (https://github.com/RadeonOpenCompute/llvm-project roc-6.4.0 25133 c7fe45cf4b819c5991fe208aaa96edf142730f1d)"
	.section	".note.GNU-stack","",@progbits
	.addrsig
	.addrsig_sym __hip_cuid_3633394be0a62a97
	.amdgpu_metadata
---
amdhsa.kernels:
  - .args:
      - .actual_access:  read_only
        .address_space:  global
        .offset:         0
        .size:           8
        .value_kind:     global_buffer
      - .offset:         8
        .size:           8
        .value_kind:     by_value
      - .actual_access:  read_only
        .address_space:  global
        .offset:         16
        .size:           8
        .value_kind:     global_buffer
      - .actual_access:  read_only
        .address_space:  global
        .offset:         24
        .size:           8
        .value_kind:     global_buffer
      - .actual_access:  read_only
        .address_space:  global
        .offset:         32
        .size:           8
        .value_kind:     global_buffer
      - .offset:         40
        .size:           8
        .value_kind:     by_value
      - .actual_access:  read_only
        .address_space:  global
        .offset:         48
        .size:           8
        .value_kind:     global_buffer
      - .actual_access:  read_only
        .address_space:  global
        .offset:         56
        .size:           8
        .value_kind:     global_buffer
      - .offset:         64
        .size:           4
        .value_kind:     by_value
      - .actual_access:  read_only
        .address_space:  global
        .offset:         72
        .size:           8
        .value_kind:     global_buffer
      - .actual_access:  read_only
        .address_space:  global
        .offset:         80
        .size:           8
        .value_kind:     global_buffer
      - .actual_access:  read_only
        .address_space:  global
        .offset:         88
        .size:           8
        .value_kind:     global_buffer
      - .actual_access:  write_only
        .address_space:  global
        .offset:         96
        .size:           8
        .value_kind:     global_buffer
    .group_segment_fixed_size: 0
    .kernarg_segment_align: 8
    .kernarg_segment_size: 104
    .language:       OpenCL C
    .language_version:
      - 2
      - 0
    .max_flat_workgroup_size: 60
    .name:           fft_rtc_back_len210_factors_10_7_3_wgs_60_tpt_30_dp_op_CI_CI_unitstride_sbrr_C2R_dirReg
    .private_segment_fixed_size: 0
    .sgpr_count:     32
    .sgpr_spill_count: 0
    .symbol:         fft_rtc_back_len210_factors_10_7_3_wgs_60_tpt_30_dp_op_CI_CI_unitstride_sbrr_C2R_dirReg.kd
    .uniform_work_group_size: 1
    .uses_dynamic_stack: false
    .vgpr_count:     112
    .vgpr_spill_count: 0
    .wavefront_size: 64
amdhsa.target:   amdgcn-amd-amdhsa--gfx906
amdhsa.version:
  - 1
  - 2
...

	.end_amdgpu_metadata
